;; amdgpu-corpus repo=ROCm/rocFFT kind=compiled arch=gfx906 opt=O3
	.text
	.amdgcn_target "amdgcn-amd-amdhsa--gfx906"
	.amdhsa_code_object_version 6
	.protected	bluestein_single_fwd_len80_dim1_sp_op_CI_CI ; -- Begin function bluestein_single_fwd_len80_dim1_sp_op_CI_CI
	.globl	bluestein_single_fwd_len80_dim1_sp_op_CI_CI
	.p2align	8
	.type	bluestein_single_fwd_len80_dim1_sp_op_CI_CI,@function
bluestein_single_fwd_len80_dim1_sp_op_CI_CI: ; @bluestein_single_fwd_len80_dim1_sp_op_CI_CI
; %bb.0:
	v_mul_u32_u24_e32 v1, 0x199a, v0
	s_load_dwordx4 s[8:11], s[4:5], 0x28
	v_lshrrev_b32_e32 v1, 16, v1
	v_mad_u64_u32 v[30:31], s[0:1], s6, 6, v[1:2]
	v_mov_b32_e32 v31, 0
	s_waitcnt lgkmcnt(0)
	v_cmp_gt_u64_e32 vcc, s[8:9], v[30:31]
	s_and_saveexec_b64 s[0:1], vcc
	s_cbranch_execz .LBB0_15
; %bb.1:
	s_load_dwordx4 s[12:15], s[4:5], 0x18
	v_mul_lo_u16_e32 v1, 10, v1
	v_sub_u16_e32 v59, v0, v1
	v_or_b32_e32 v60, 16, v59
	v_or_b32_e32 v58, 32, v59
	s_waitcnt lgkmcnt(0)
	s_load_dwordx4 s[0:3], s[12:13], 0x0
	v_or_b32_e32 v57, 48, v59
	v_or_b32_e32 v56, 64, v59
	v_lshlrev_b32_e32 v16, 3, v59
	s_waitcnt lgkmcnt(0)
	v_mad_u64_u32 v[0:1], s[6:7], s2, v30, 0
	v_mad_u64_u32 v[2:3], s[6:7], s0, v59, 0
	s_load_dwordx2 s[6:7], s[4:5], 0x0
	v_mad_u64_u32 v[4:5], s[2:3], s3, v30, v[1:2]
	v_mad_u64_u32 v[5:6], s[2:3], s1, v59, v[3:4]
	v_mov_b32_e32 v1, v4
	v_lshlrev_b64 v[0:1], 3, v[0:1]
	v_mov_b32_e32 v3, v5
	v_mad_u64_u32 v[4:5], s[2:3], s0, v60, 0
	v_mov_b32_e32 v6, s11
	v_add_co_u32_e32 v0, vcc, s10, v0
	v_addc_co_u32_e32 v1, vcc, v6, v1, vcc
	v_mad_u64_u32 v[5:6], s[2:3], s1, v60, v[5:6]
	v_mad_u64_u32 v[6:7], s[2:3], s0, v58, 0
	v_lshlrev_b64 v[2:3], 3, v[2:3]
	v_lshlrev_b64 v[4:5], 3, v[4:5]
	v_mad_u64_u32 v[7:8], s[2:3], s1, v58, v[7:8]
	v_mad_u64_u32 v[8:9], s[2:3], s0, v57, 0
	v_add_co_u32_e32 v2, vcc, v0, v2
	v_mad_u64_u32 v[9:10], s[2:3], s1, v57, v[9:10]
	v_mad_u64_u32 v[10:11], s[2:3], s0, v56, 0
	v_addc_co_u32_e32 v3, vcc, v1, v3, vcc
	v_add_co_u32_e32 v4, vcc, v0, v4
	v_lshlrev_b64 v[6:7], 3, v[6:7]
	v_addc_co_u32_e32 v5, vcc, v1, v5, vcc
	v_mad_u64_u32 v[11:12], s[2:3], s1, v56, v[11:12]
	v_add_co_u32_e32 v6, vcc, v0, v6
	v_lshlrev_b64 v[8:9], 3, v[8:9]
	v_addc_co_u32_e32 v7, vcc, v1, v7, vcc
	global_load_dwordx2 v[2:3], v[2:3], off
	v_add_co_u32_e32 v8, vcc, v0, v8
	s_waitcnt lgkmcnt(0)
	global_load_dwordx2 v[39:40], v16, s[6:7]
	global_load_dwordx2 v[37:38], v16, s[6:7] offset:128
	v_addc_co_u32_e32 v9, vcc, v1, v9, vcc
	global_load_dwordx2 v[4:5], v[4:5], off
	s_nop 0
	global_load_dwordx2 v[12:13], v[6:7], off
	global_load_dwordx2 v[14:15], v[8:9], off
	global_load_dwordx2 v[35:36], v16, s[6:7] offset:256
	global_load_dwordx2 v[33:34], v16, s[6:7] offset:384
	v_lshlrev_b64 v[6:7], 3, v[10:11]
	s_mov_b32 s2, 0xaaaaaaab
	v_add_co_u32_e32 v6, vcc, v0, v6
	v_addc_co_u32_e32 v7, vcc, v1, v7, vcc
	global_load_dwordx2 v[31:32], v16, s[6:7] offset:512
	global_load_dwordx2 v[8:9], v[6:7], off
	v_mul_hi_u32 v6, v30, s2
	v_mov_b32_e32 v7, s7
	v_add_co_u32_e32 v28, vcc, s6, v16
	v_lshrrev_b32_e32 v6, 2, v6
	v_mul_lo_u32 v6, v6, 6
	v_addc_co_u32_e32 v29, vcc, 0, v7, vcc
	s_load_dwordx2 s[2:3], s[4:5], 0x38
	s_load_dwordx4 s[8:11], s[14:15], 0x0
	v_sub_u32_e32 v6, v30, v6
	v_mul_u32_u24_e32 v62, 0x50, v6
	v_or_b32_e32 v6, v62, v59
	v_lshlrev_b32_e32 v61, 3, v6
	v_lshl_add_u32 v55, v62, 3, v16
	v_add_co_u32_e32 v20, vcc, 10, v59
	v_cmp_gt_u16_e32 vcc, 6, v59
	s_waitcnt vmcnt(8)
	v_mul_f32_e32 v6, v3, v40
	v_mul_f32_e32 v7, v2, v40
	v_fmac_f32_e32 v6, v2, v39
	v_fma_f32 v7, v3, v39, -v7
	s_waitcnt vmcnt(6)
	v_mul_f32_e32 v2, v5, v38
	v_mul_f32_e32 v3, v4, v38
	v_fmac_f32_e32 v2, v4, v37
	v_fma_f32 v3, v5, v37, -v3
	;; [unrolled: 5-line block ×3, first 2 shown]
	ds_write_b64 v61, v[6:7]
	ds_write2_b64 v55, v[2:3], v[4:5] offset0:16 offset1:32
	s_waitcnt vmcnt(2)
	v_mul_f32_e32 v2, v15, v34
	v_mul_f32_e32 v3, v14, v34
	s_waitcnt vmcnt(0)
	v_mul_f32_e32 v4, v9, v32
	v_mul_f32_e32 v5, v8, v32
	v_fmac_f32_e32 v2, v14, v33
	v_fma_f32 v3, v15, v33, -v3
	v_fmac_f32_e32 v4, v8, v31
	v_fma_f32 v5, v9, v31, -v5
	ds_write2_b64 v55, v[2:3], v[4:5] offset0:48 offset1:64
	s_and_saveexec_b64 s[12:13], vcc
	s_cbranch_execz .LBB0_3
; %bb.2:
	v_mad_u64_u32 v[2:3], s[14:15], s0, v20, 0
	v_mad_u64_u32 v[3:4], s[14:15], s1, v20, v[3:4]
	s_lshl_b64 s[14:15], s[0:1], 7
	v_mov_b32_e32 v18, s15
	v_lshlrev_b64 v[2:3], 3, v[2:3]
	global_load_dwordx2 v[4:5], v[28:29], off offset:80
	v_add_co_u32_e64 v0, s[0:1], v0, v2
	v_addc_co_u32_e64 v1, s[0:1], v1, v3, s[0:1]
	global_load_dwordx2 v[2:3], v[0:1], off
	v_add_co_u32_e64 v0, s[0:1], s14, v0
	v_addc_co_u32_e64 v1, s[0:1], v1, v18, s[0:1]
	v_add_co_u32_e64 v6, s[0:1], s14, v0
	v_addc_co_u32_e64 v7, s[0:1], v1, v18, s[0:1]
	global_load_dwordx2 v[8:9], v[0:1], off
	global_load_dwordx2 v[10:11], v[6:7], off
	global_load_dwordx2 v[12:13], v[28:29], off offset:208
	global_load_dwordx2 v[14:15], v[28:29], off offset:336
	v_add_co_u32_e64 v0, s[0:1], s14, v6
	v_addc_co_u32_e64 v1, s[0:1], v7, v18, s[0:1]
	global_load_dwordx2 v[6:7], v[0:1], off
	global_load_dwordx2 v[16:17], v[28:29], off offset:464
	v_add_co_u32_e64 v0, s[0:1], s14, v0
	v_addc_co_u32_e64 v1, s[0:1], v1, v18, s[0:1]
	global_load_dwordx2 v[18:19], v[28:29], off offset:592
	global_load_dwordx2 v[21:22], v[0:1], off
	s_waitcnt vmcnt(8)
	v_mul_f32_e32 v0, v3, v5
	v_mul_f32_e32 v1, v2, v5
	v_fmac_f32_e32 v0, v2, v4
	v_fma_f32 v1, v3, v4, -v1
	s_waitcnt vmcnt(5)
	v_mul_f32_e32 v2, v9, v13
	v_mul_f32_e32 v3, v8, v13
	v_fmac_f32_e32 v2, v8, v12
	v_fma_f32 v3, v9, v12, -v3
	s_waitcnt vmcnt(4)
	v_mul_f32_e32 v4, v11, v15
	v_mul_f32_e32 v5, v10, v15
	ds_write2_b64 v55, v[0:1], v[2:3] offset0:10 offset1:26
	s_waitcnt vmcnt(2)
	v_mul_f32_e32 v0, v7, v17
	v_mul_f32_e32 v1, v6, v17
	v_fmac_f32_e32 v4, v10, v14
	v_fma_f32 v5, v11, v14, -v5
	s_waitcnt vmcnt(0)
	v_mul_f32_e32 v2, v22, v19
	v_mul_f32_e32 v3, v21, v19
	v_fmac_f32_e32 v0, v6, v16
	v_fma_f32 v1, v7, v16, -v1
	v_fmac_f32_e32 v2, v21, v18
	v_fma_f32 v3, v22, v18, -v3
	ds_write2_b64 v55, v[4:5], v[0:1] offset0:42 offset1:58
	ds_write_b64 v55, v[2:3] offset:592
.LBB0_3:
	s_or_b64 exec, exec, s[12:13]
	s_waitcnt lgkmcnt(0)
	; wave barrier
	s_waitcnt lgkmcnt(0)
	ds_read_b64 v[18:19], v61
	ds_read2_b64 v[0:3], v55 offset0:16 offset1:32
	ds_read2_b64 v[12:15], v55 offset0:48 offset1:64
	s_load_dwordx2 s[4:5], s[4:5], 0x8
                                        ; implicit-def: $vgpr4
                                        ; implicit-def: $vgpr16
                                        ; implicit-def: $vgpr10
	s_and_saveexec_b64 s[0:1], vcc
	s_cbranch_execz .LBB0_5
; %bb.4:
	ds_read2_b64 v[8:11], v55 offset0:10 offset1:26
	ds_read2_b64 v[4:7], v55 offset0:42 offset1:58
	ds_read_b64 v[16:17], v55 offset:592
.LBB0_5:
	s_or_b64 exec, exec, s[0:1]
	s_waitcnt lgkmcnt(0)
	v_add_f32_e32 v21, v18, v0
	v_add_f32_e32 v21, v21, v2
	;; [unrolled: 1-line block ×5, first 2 shown]
	v_fma_f32 v44, -0.5, v21, v18
	v_sub_f32_e32 v21, v1, v15
	v_mov_b32_e32 v46, v44
	v_fmac_f32_e32 v46, 0x3f737871, v21
	v_sub_f32_e32 v22, v3, v13
	v_sub_f32_e32 v23, v0, v2
	;; [unrolled: 1-line block ×3, first 2 shown]
	v_fmac_f32_e32 v44, 0xbf737871, v21
	v_fmac_f32_e32 v46, 0x3f167918, v22
	v_add_f32_e32 v23, v23, v24
	v_fmac_f32_e32 v44, 0xbf167918, v22
	v_fmac_f32_e32 v46, 0x3e9e377a, v23
	v_fmac_f32_e32 v44, 0x3e9e377a, v23
	v_add_f32_e32 v23, v0, v14
	v_fma_f32 v18, -0.5, v23, v18
	v_mov_b32_e32 v48, v18
	v_fmac_f32_e32 v48, 0xbf737871, v22
	v_fmac_f32_e32 v18, 0x3f737871, v22
	;; [unrolled: 1-line block ×4, first 2 shown]
	v_add_f32_e32 v21, v19, v1
	v_add_f32_e32 v21, v21, v3
	;; [unrolled: 1-line block ×5, first 2 shown]
	v_fma_f32 v45, -0.5, v21, v19
	v_sub_f32_e32 v23, v2, v0
	v_sub_f32_e32 v0, v0, v14
	v_mov_b32_e32 v47, v45
	v_sub_f32_e32 v24, v12, v14
	v_fmac_f32_e32 v47, 0xbf737871, v0
	v_sub_f32_e32 v2, v2, v12
	v_sub_f32_e32 v12, v1, v3
	;; [unrolled: 1-line block ×3, first 2 shown]
	v_fmac_f32_e32 v45, 0x3f737871, v0
	v_fmac_f32_e32 v47, 0xbf167918, v2
	v_add_f32_e32 v12, v12, v14
	v_fmac_f32_e32 v45, 0x3f167918, v2
	v_fmac_f32_e32 v47, 0x3e9e377a, v12
	;; [unrolled: 1-line block ×3, first 2 shown]
	v_add_f32_e32 v12, v1, v15
	v_fmac_f32_e32 v19, -0.5, v12
	v_mov_b32_e32 v49, v19
	v_fmac_f32_e32 v49, 0x3f737871, v2
	v_sub_f32_e32 v1, v3, v1
	v_sub_f32_e32 v3, v13, v15
	v_fmac_f32_e32 v19, 0xbf737871, v2
	v_fmac_f32_e32 v49, 0xbf167918, v0
	v_add_f32_e32 v1, v1, v3
	v_fmac_f32_e32 v19, 0x3f167918, v0
	v_add_f32_e32 v0, v4, v6
	v_fmac_f32_e32 v49, 0x3e9e377a, v1
	v_fmac_f32_e32 v19, 0x3e9e377a, v1
	v_fma_f32 v13, -0.5, v0, v8
	v_sub_f32_e32 v0, v10, v4
	v_sub_f32_e32 v1, v16, v6
	v_add_f32_e32 v21, v1, v0
	v_add_f32_e32 v0, v16, v10
	;; [unrolled: 1-line block ×3, first 2 shown]
	v_fma_f32 v12, -0.5, v0, v8
	v_sub_f32_e32 v0, v4, v10
	v_sub_f32_e32 v1, v6, v16
	v_fmac_f32_e32 v48, 0x3e9e377a, v23
	v_fmac_f32_e32 v18, 0x3e9e377a, v23
	v_add_f32_e32 v23, v1, v0
	v_add_f32_e32 v1, v5, v7
	v_fma_f32 v24, -0.5, v1, v9
	v_sub_f32_e32 v1, v11, v5
	v_sub_f32_e32 v3, v17, v7
	v_add_f32_e32 v27, v3, v1
	v_add_f32_e32 v1, v17, v11
	v_fma_f32 v22, -0.5, v1, v9
	v_sub_f32_e32 v1, v5, v11
	v_sub_f32_e32 v41, v7, v17
	;; [unrolled: 1-line block ×4, first 2 shown]
	v_mov_b32_e32 v2, v13
	v_mov_b32_e32 v0, v12
	v_sub_f32_e32 v25, v10, v16
	v_sub_f32_e32 v26, v4, v6
	v_mov_b32_e32 v3, v24
	v_add_f32_e32 v41, v41, v1
	v_mov_b32_e32 v1, v22
	v_fmac_f32_e32 v2, 0xbf737871, v14
	v_fmac_f32_e32 v0, 0x3f737871, v15
	;; [unrolled: 1-line block ×8, first 2 shown]
	v_mul_lo_u16_e32 v50, 5, v59
	v_fmac_f32_e32 v2, 0x3e9e377a, v21
	v_fmac_f32_e32 v0, 0x3e9e377a, v23
	;; [unrolled: 1-line block ×4, first 2 shown]
	v_add_lshl_u32 v64, v62, v50, 3
	v_mul_u32_u24_e32 v63, 5, v20
	s_waitcnt lgkmcnt(0)
	; wave barrier
	ds_write2_b64 v64, v[42:43], v[46:47] offset1:1
	ds_write2_b64 v64, v[48:49], v[18:19] offset0:2 offset1:3
	ds_write_b64 v64, v[44:45] offset:32
	s_and_saveexec_b64 s[0:1], vcc
	s_cbranch_execz .LBB0_7
; %bb.6:
	v_add_f32_e32 v9, v11, v9
	v_add_f32_e32 v5, v5, v9
	;; [unrolled: 1-line block ×4, first 2 shown]
	v_mul_f32_e32 v43, 0x3f167918, v26
	v_mul_f32_e32 v26, 0x3f737871, v26
	v_add_f32_e32 v4, v4, v7
	v_mul_f32_e32 v18, 0x3f737871, v14
	v_mul_f32_e32 v42, 0x3f167918, v14
	;; [unrolled: 1-line block ×4, first 2 shown]
	v_add_f32_e32 v4, v6, v4
	v_add_f32_e32 v6, v26, v22
	v_mul_f32_e32 v19, 0x3f167918, v15
	v_mul_f32_e32 v15, 0x3f737871, v15
	v_mul_f32_e32 v41, 0x3e9e377a, v41
	v_sub_f32_e32 v14, v24, v14
	v_add_f32_e32 v13, v13, v18
	v_sub_f32_e32 v6, v6, v25
	v_mul_f32_e32 v21, 0x3e9e377a, v21
	v_mul_f32_e32 v27, 0x3e9e377a, v27
	v_sub_f32_e32 v14, v14, v43
	v_add_f32_e32 v13, v19, v13
	v_add_f32_e32 v7, v41, v6
	v_sub_f32_e32 v6, v12, v15
	v_mul_f32_e32 v23, 0x3e9e377a, v23
	v_add_f32_e32 v14, v27, v14
	v_add_f32_e32 v13, v21, v13
	;; [unrolled: 1-line block ×5, first 2 shown]
	v_add_lshl_u32 v8, v62, v63, 3
	v_add_f32_e32 v6, v23, v6
	ds_write2_b64 v8, v[4:5], v[13:14] offset1:1
	ds_write2_b64 v8, v[6:7], v[0:1] offset0:2 offset1:3
	ds_write_b64 v8, v[2:3] offset:32
.LBB0_7:
	s_or_b64 exec, exec, s[0:1]
	v_add_co_u32_e64 v4, s[0:1], -5, v59
	v_addc_co_u32_e64 v5, s[0:1], 0, -1, s[0:1]
	v_cmp_gt_u16_e64 s[0:1], 5, v59
	v_cndmask_b32_e64 v17, v5, 0, s[0:1]
	v_cndmask_b32_e64 v16, v4, v59, s[0:1]
	s_movk_i32 s0, 0xcd
	v_add_u16_e32 v9, 20, v59
	v_mul_lo_u16_sdwa v10, v9, s0 dst_sel:DWORD dst_unused:UNUSED_PAD src0_sel:BYTE_0 src1_sel:DWORD
	v_lshrrev_b16_e32 v23, 10, v10
	v_mul_lo_u16_e32 v10, 5, v23
	v_mul_lo_u16_sdwa v7, v20, s0 dst_sel:DWORD dst_unused:UNUSED_PAD src0_sel:BYTE_0 src1_sel:DWORD
	v_sub_u16_e32 v24, v9, v10
	v_add_u16_e32 v10, 30, v59
	v_lshlrev_b64 v[4:5], 3, v[16:17]
	v_lshrrev_b16_e32 v21, 10, v7
	v_mul_lo_u16_sdwa v11, v10, s0 dst_sel:DWORD dst_unused:UNUSED_PAD src0_sel:BYTE_0 src1_sel:DWORD
	v_mul_lo_u16_e32 v7, 5, v21
	v_lshrrev_b16_e32 v25, 10, v11
	v_mov_b32_e32 v6, s5
	v_sub_u16_e32 v22, v20, v7
	v_mov_b32_e32 v7, 3
	v_mul_lo_u16_e32 v11, 5, v25
	v_add_co_u32_e64 v4, s[0:1], s4, v4
	v_lshlrev_b32_sdwa v8, v7, v22 dst_sel:DWORD dst_unused:UNUSED_PAD src0_sel:DWORD src1_sel:BYTE_0
	v_sub_u16_e32 v26, v10, v11
	v_addc_co_u32_e64 v5, s[0:1], v6, v5, s[0:1]
	s_waitcnt lgkmcnt(0)
	; wave barrier
	s_waitcnt lgkmcnt(0)
	v_lshlrev_b32_sdwa v9, v7, v24 dst_sel:DWORD dst_unused:UNUSED_PAD src0_sel:DWORD src1_sel:BYTE_0
	v_lshlrev_b32_sdwa v7, v7, v26 dst_sel:DWORD dst_unused:UNUSED_PAD src0_sel:DWORD src1_sel:BYTE_0
	global_load_dwordx2 v[45:46], v8, s[4:5]
	global_load_dwordx2 v[43:44], v9, s[4:5]
	;; [unrolled: 1-line block ×3, first 2 shown]
	global_load_dwordx2 v[47:48], v[4:5], off
	v_cmp_lt_u16_e64 s[0:1], 4, v59
	ds_read2_b64 v[4:7], v55 offset0:30 offset1:40
	ds_read2_b64 v[8:11], v55 offset0:10 offset1:20
	;; [unrolled: 1-line block ×3, first 2 shown]
	ds_read_b64 v[17:18], v61
	ds_read_b64 v[19:20], v55 offset:560
	v_cndmask_b32_e64 v27, 0, 10, s[0:1]
	v_add_u32_e32 v16, v16, v27
	v_add_lshl_u32 v65, v62, v16, 3
	v_mad_legacy_u16 v16, v21, 10, v22
	v_mad_legacy_u16 v21, v23, 10, v24
	v_and_b32_e32 v16, 0xff, v16
	v_and_b32_e32 v21, 0xff, v21
	v_add_lshl_u32 v67, v62, v16, 3
	v_mad_legacy_u16 v22, v25, 10, v26
	v_add_lshl_u32 v66, v62, v21, 3
	s_waitcnt lgkmcnt(0)
	; wave barrier
	s_waitcnt lgkmcnt(0)
	v_and_b32_e32 v22, 0xff, v22
	v_add_lshl_u32 v68, v62, v22, 3
	s_add_u32 s6, s6, 0x280
	s_addc_u32 s7, s7, 0
	s_waitcnt vmcnt(3)
	v_mul_f32_e32 v16, v13, v46
	v_mul_f32_e32 v21, v12, v46
	s_waitcnt vmcnt(2)
	v_mul_f32_e32 v23, v15, v44
	s_waitcnt vmcnt(0)
	v_mul_f32_e32 v27, v7, v48
	v_mul_f32_e32 v49, v6, v48
	;; [unrolled: 1-line block ×5, first 2 shown]
	v_fma_f32 v12, v12, v45, -v16
	v_fma_f32 v16, v6, v47, -v27
	v_fmac_f32_e32 v49, v7, v47
	v_fmac_f32_e32 v21, v13, v45
	v_fma_f32 v13, v14, v43, -v23
	v_fmac_f32_e32 v24, v15, v43
	v_fma_f32 v14, v19, v41, -v25
	v_fmac_f32_e32 v26, v20, v41
	v_sub_f32_e32 v19, v17, v16
	v_sub_f32_e32 v20, v18, v49
	;; [unrolled: 1-line block ×6, first 2 shown]
	v_fma_f32 v16, v17, 2.0, -v19
	v_fma_f32 v17, v18, 2.0, -v20
	;; [unrolled: 1-line block ×6, first 2 shown]
	ds_write2_b64 v65, v[16:17], v[19:20] offset1:5
	ds_write2_b64 v67, v[8:9], v[6:7] offset1:5
	;; [unrolled: 1-line block ×3, first 2 shown]
	v_mad_u64_u32 v[16:17], s[0:1], v59, 56, s[4:5]
	v_sub_f32_e32 v14, v4, v14
	v_sub_f32_e32 v15, v5, v26
	v_fma_f32 v4, v4, 2.0, -v14
	v_fma_f32 v5, v5, 2.0, -v15
	ds_write2_b64 v68, v[4:5], v[14:15] offset1:5
	s_waitcnt lgkmcnt(0)
	; wave barrier
	s_waitcnt lgkmcnt(0)
	global_load_dwordx4 v[12:15], v[16:17], off offset:40
	global_load_dwordx4 v[8:11], v[16:17], off offset:56
	;; [unrolled: 1-line block ×3, first 2 shown]
	global_load_dwordx2 v[49:50], v[16:17], off offset:88
	ds_read2_b64 v[16:19], v55 offset0:10 offset1:20
	ds_read2_b64 v[20:23], v55 offset0:30 offset1:40
	;; [unrolled: 1-line block ×3, first 2 shown]
	ds_read_b64 v[51:52], v61
	ds_read_b64 v[53:54], v55 offset:560
	s_waitcnt vmcnt(3) lgkmcnt(4)
	v_mul_f32_e32 v70, v16, v13
	v_mul_f32_e32 v71, v19, v15
	v_mul_f32_e32 v72, v18, v15
	s_waitcnt vmcnt(2) lgkmcnt(3)
	v_mul_f32_e32 v74, v20, v9
	v_mul_f32_e32 v75, v23, v11
	v_mul_f32_e32 v76, v22, v11
	;; [unrolled: 4-line block ×3, first 2 shown]
	v_mul_f32_e32 v69, v17, v13
	v_mul_f32_e32 v73, v21, v9
	;; [unrolled: 1-line block ×3, first 2 shown]
	s_waitcnt vmcnt(0) lgkmcnt(0)
	v_mul_f32_e32 v81, v54, v50
	v_mul_f32_e32 v82, v53, v50
	v_fmac_f32_e32 v70, v17, v12
	v_fma_f32 v17, v18, v14, -v71
	v_fmac_f32_e32 v72, v19, v14
	v_fmac_f32_e32 v74, v21, v8
	v_fma_f32 v19, v22, v10, -v75
	v_fmac_f32_e32 v76, v23, v10
	;; [unrolled: 3-line block ×3, first 2 shown]
	v_fma_f32 v16, v16, v12, -v69
	v_fma_f32 v18, v20, v8, -v73
	;; [unrolled: 1-line block ×4, first 2 shown]
	v_fmac_f32_e32 v82, v54, v49
	v_sub_f32_e32 v19, v51, v19
	v_sub_f32_e32 v23, v52, v76
	;; [unrolled: 1-line block ×8, first 2 shown]
	v_fma_f32 v27, v51, 2.0, -v19
	v_fma_f32 v51, v52, 2.0, -v23
	;; [unrolled: 1-line block ×5, first 2 shown]
	v_sub_f32_e32 v69, v19, v24
	v_add_f32_e32 v70, v23, v21
	v_fma_f32 v54, v74, 2.0, -v26
	v_sub_f32_e32 v71, v20, v26
	v_add_f32_e32 v72, v25, v22
	v_sub_f32_e32 v26, v27, v17
	v_sub_f32_e32 v73, v51, v52
	v_fma_f32 v17, v19, 2.0, -v69
	v_fma_f32 v19, v23, 2.0, -v70
	;; [unrolled: 1-line block ×5, first 2 shown]
	v_mov_b32_e32 v51, v17
	v_mov_b32_e32 v52, v19
	v_fma_f32 v16, v16, 2.0, -v20
	v_fma_f32 v18, v18, 2.0, -v22
	v_fmac_f32_e32 v51, 0xbf3504f3, v24
	v_fmac_f32_e32 v52, 0xbf3504f3, v25
	v_sub_f32_e32 v18, v16, v18
	v_sub_f32_e32 v21, v53, v54
	v_fmac_f32_e32 v51, 0xbf3504f3, v25
	v_fmac_f32_e32 v52, 0x3f3504f3, v24
	v_fma_f32 v22, v27, 2.0, -v26
	v_fma_f32 v20, v16, 2.0, -v18
	;; [unrolled: 1-line block ×5, first 2 shown]
	v_add_f32_e32 v17, v73, v18
	v_mov_b32_e32 v18, v69
	v_mov_b32_e32 v19, v70
	v_sub_f32_e32 v16, v26, v21
	v_sub_f32_e32 v20, v22, v20
	;; [unrolled: 1-line block ×3, first 2 shown]
	v_fmac_f32_e32 v18, 0x3f3504f3, v71
	v_fmac_f32_e32 v19, 0x3f3504f3, v72
	v_fma_f32 v22, v22, 2.0, -v20
	v_fma_f32 v23, v23, 2.0, -v21
	v_fmac_f32_e32 v18, 0xbf3504f3, v72
	v_fmac_f32_e32 v19, 0x3f3504f3, v71
	v_fma_f32 v26, v26, 2.0, -v16
	v_fma_f32 v27, v73, 2.0, -v17
	;; [unrolled: 1-line block ×4, first 2 shown]
	ds_write_b64 v61, v[22:23]
	ds_write2_b64 v55, v[24:25], v[26:27] offset0:10 offset1:20
	ds_write2_b64 v55, v[53:54], v[20:21] offset0:30 offset1:40
	;; [unrolled: 1-line block ×3, first 2 shown]
	ds_write_b64 v55, v[18:19] offset:560
	s_waitcnt lgkmcnt(0)
	; wave barrier
	s_waitcnt lgkmcnt(0)
	global_load_dwordx2 v[21:22], v[28:29], off offset:640
	v_lshlrev_b32_e32 v20, 3, v59
	global_load_dwordx2 v[25:26], v20, s[6:7] offset:128
	global_load_dwordx2 v[53:54], v20, s[6:7] offset:256
	;; [unrolled: 1-line block ×4, first 2 shown]
	ds_read_b64 v[23:24], v61
	s_waitcnt vmcnt(4) lgkmcnt(0)
	v_mul_f32_e32 v27, v24, v22
	v_mul_f32_e32 v70, v23, v22
	v_fma_f32 v69, v23, v21, -v27
	v_fmac_f32_e32 v70, v24, v21
	ds_write_b64 v61, v[69:70]
	ds_read2_b64 v[21:24], v55 offset0:16 offset1:32
	ds_read2_b64 v[69:72], v55 offset0:48 offset1:64
	s_waitcnt vmcnt(3) lgkmcnt(1)
	v_mul_f32_e32 v78, v22, v26
	v_mul_f32_e32 v27, v21, v26
	s_waitcnt vmcnt(2)
	v_mul_f32_e32 v79, v24, v54
	v_mul_f32_e32 v77, v23, v54
	s_waitcnt vmcnt(1) lgkmcnt(0)
	v_mul_f32_e32 v80, v70, v74
	v_mul_f32_e32 v54, v69, v74
	s_waitcnt vmcnt(0)
	v_mul_f32_e32 v81, v72, v76
	v_mul_f32_e32 v74, v71, v76
	v_fma_f32 v26, v21, v25, -v78
	v_fmac_f32_e32 v27, v22, v25
	v_fma_f32 v76, v23, v53, -v79
	v_fmac_f32_e32 v77, v24, v53
	;; [unrolled: 2-line block ×4, first 2 shown]
	ds_write2_b64 v55, v[26:27], v[76:77] offset0:16 offset1:32
	ds_write2_b64 v55, v[53:54], v[73:74] offset0:48 offset1:64
	s_and_saveexec_b64 s[4:5], vcc
	s_cbranch_execz .LBB0_9
; %bb.8:
	v_add_co_u32_e64 v24, s[0:1], s6, v20
	v_mov_b32_e32 v20, s7
	v_addc_co_u32_e64 v25, s[0:1], 0, v20, s[0:1]
	global_load_dwordx2 v[26:27], v[24:25], off offset:80
	ds_read2_b64 v[20:23], v55 offset0:10 offset1:26
	s_waitcnt vmcnt(0) lgkmcnt(0)
	v_mul_f32_e32 v53, v21, v27
	v_mul_f32_e32 v54, v20, v27
	v_fma_f32 v53, v20, v26, -v53
	v_fmac_f32_e32 v54, v21, v26
	global_load_dwordx2 v[20:21], v[24:25], off offset:208
	s_waitcnt vmcnt(0)
	v_mul_f32_e32 v26, v23, v21
	v_mul_f32_e32 v27, v22, v21
	v_fma_f32 v26, v22, v20, -v26
	v_fmac_f32_e32 v27, v23, v20
	ds_write2_b64 v55, v[53:54], v[26:27] offset0:10 offset1:26
	global_load_dwordx2 v[26:27], v[24:25], off offset:336
	ds_read2_b64 v[20:23], v55 offset0:42 offset1:58
	s_waitcnt vmcnt(0) lgkmcnt(0)
	v_mul_f32_e32 v53, v21, v27
	v_mul_f32_e32 v54, v20, v27
	v_fma_f32 v53, v20, v26, -v53
	v_fmac_f32_e32 v54, v21, v26
	global_load_dwordx2 v[20:21], v[24:25], off offset:464
	s_waitcnt vmcnt(0)
	v_mul_f32_e32 v26, v23, v21
	v_mul_f32_e32 v27, v22, v21
	v_fma_f32 v26, v22, v20, -v26
	v_fmac_f32_e32 v27, v23, v20
	global_load_dwordx2 v[22:23], v[24:25], off offset:592
	ds_read_b64 v[20:21], v55 offset:592
	ds_write2_b64 v55, v[53:54], v[26:27] offset0:42 offset1:58
	s_waitcnt vmcnt(0) lgkmcnt(1)
	v_mul_f32_e32 v24, v21, v23
	v_mul_f32_e32 v25, v20, v23
	v_fma_f32 v24, v20, v22, -v24
	v_fmac_f32_e32 v25, v21, v22
	ds_write_b64 v55, v[24:25] offset:592
.LBB0_9:
	s_or_b64 exec, exec, s[4:5]
	s_waitcnt lgkmcnt(0)
	; wave barrier
	s_waitcnt lgkmcnt(0)
	ds_read_b64 v[53:54], v61
	ds_read2_b64 v[20:23], v55 offset0:16 offset1:32
	ds_read2_b64 v[24:27], v55 offset0:48 offset1:64
	s_and_saveexec_b64 s[0:1], vcc
	s_cbranch_execz .LBB0_11
; %bb.10:
	v_lshlrev_b32_e32 v0, 3, v62
	v_lshl_add_u32 v16, v59, 3, v0
	ds_read2_b64 v[0:3], v16 offset0:58 offset1:74
	ds_read_b64 v[51:52], v55 offset:80
	ds_read2_b64 v[16:19], v16 offset0:26 offset1:42
.LBB0_11:
	s_or_b64 exec, exec, s[0:1]
	s_waitcnt lgkmcnt(0)
	v_add_f32_e32 v70, v22, v24
	v_fma_f32 v71, -0.5, v70, v53
	v_sub_f32_e32 v70, v21, v27
	v_mov_b32_e32 v73, v71
	v_fmac_f32_e32 v73, 0xbf737871, v70
	v_sub_f32_e32 v72, v23, v25
	v_sub_f32_e32 v74, v20, v22
	;; [unrolled: 1-line block ×3, first 2 shown]
	v_fmac_f32_e32 v71, 0x3f737871, v70
	v_fmac_f32_e32 v73, 0xbf167918, v72
	v_add_f32_e32 v74, v74, v75
	v_fmac_f32_e32 v71, 0x3f167918, v72
	v_fmac_f32_e32 v73, 0x3e9e377a, v74
	v_fmac_f32_e32 v71, 0x3e9e377a, v74
	v_add_f32_e32 v74, v20, v26
	v_add_f32_e32 v69, v53, v20
	v_fma_f32 v53, -0.5, v74, v53
	v_mov_b32_e32 v75, v53
	v_fmac_f32_e32 v75, 0x3f737871, v72
	v_sub_f32_e32 v74, v22, v20
	v_sub_f32_e32 v76, v24, v26
	v_fmac_f32_e32 v53, 0xbf737871, v72
	v_add_f32_e32 v72, v23, v25
	v_add_f32_e32 v69, v69, v22
	v_fmac_f32_e32 v75, 0xbf167918, v70
	v_add_f32_e32 v74, v74, v76
	v_fmac_f32_e32 v53, 0x3f167918, v70
	v_fma_f32 v72, -0.5, v72, v54
	v_add_f32_e32 v69, v69, v24
	v_fmac_f32_e32 v75, 0x3e9e377a, v74
	v_fmac_f32_e32 v53, 0x3e9e377a, v74
	v_sub_f32_e32 v20, v20, v26
	v_mov_b32_e32 v74, v72
	v_add_f32_e32 v69, v69, v26
	v_fmac_f32_e32 v74, 0x3f737871, v20
	v_sub_f32_e32 v22, v22, v24
	v_sub_f32_e32 v24, v21, v23
	v_sub_f32_e32 v26, v27, v25
	v_fmac_f32_e32 v72, 0xbf737871, v20
	v_fmac_f32_e32 v74, 0x3f167918, v22
	v_add_f32_e32 v24, v24, v26
	v_fmac_f32_e32 v72, 0xbf167918, v22
	v_fmac_f32_e32 v74, 0x3e9e377a, v24
	;; [unrolled: 1-line block ×3, first 2 shown]
	v_add_f32_e32 v24, v21, v27
	v_add_f32_e32 v70, v54, v21
	v_fmac_f32_e32 v54, -0.5, v24
	v_add_f32_e32 v70, v70, v23
	v_mov_b32_e32 v76, v54
	v_add_f32_e32 v70, v70, v25
	v_fmac_f32_e32 v76, 0xbf737871, v22
	v_sub_f32_e32 v21, v23, v21
	v_sub_f32_e32 v23, v25, v27
	v_fmac_f32_e32 v54, 0x3f737871, v22
	v_add_f32_e32 v70, v70, v27
	v_fmac_f32_e32 v76, 0x3f167918, v20
	v_add_f32_e32 v21, v21, v23
	v_fmac_f32_e32 v54, 0xbf167918, v20
	v_fmac_f32_e32 v76, 0x3e9e377a, v21
	;; [unrolled: 1-line block ×3, first 2 shown]
	s_waitcnt lgkmcnt(0)
	; wave barrier
	ds_write2_b64 v64, v[69:70], v[73:74] offset1:1
	ds_write2_b64 v64, v[75:76], v[53:54] offset0:2 offset1:3
	ds_write_b64 v64, v[71:72] offset:32
	s_and_saveexec_b64 s[0:1], vcc
	s_cbranch_execz .LBB0_13
; %bb.12:
	v_add_f32_e32 v24, v17, v52
	v_add_f32_e32 v24, v19, v24
	v_sub_f32_e32 v20, v17, v19
	v_sub_f32_e32 v21, v3, v1
	v_add_f32_e32 v24, v1, v24
	v_add_f32_e32 v26, v21, v20
	;; [unrolled: 1-line block ×5, first 2 shown]
	v_fma_f32 v21, -0.5, v20, v52
	v_sub_f32_e32 v20, v16, v18
	v_sub_f32_e32 v22, v2, v0
	;; [unrolled: 1-line block ×3, first 2 shown]
	v_add_f32_e32 v24, v18, v24
	v_sub_f32_e32 v19, v19, v17
	v_sub_f32_e32 v1, v1, v3
	;; [unrolled: 1-line block ×3, first 2 shown]
	v_add_f32_e32 v54, v22, v20
	v_add_f32_e32 v20, v18, v0
	v_sub_f32_e32 v64, v17, v3
	v_add_f32_e32 v24, v0, v24
	v_add_f32_e32 v19, v1, v19
	;; [unrolled: 1-line block ×3, first 2 shown]
	v_sub_f32_e32 v3, v18, v16
	v_sub_f32_e32 v0, v0, v2
	v_fma_f32 v20, -0.5, v20, v51
	v_add_f32_e32 v3, v0, v3
	v_add_f32_e32 v0, v2, v16
	v_sub_f32_e32 v53, v16, v2
	v_mov_b32_e32 v23, v21
	v_mov_b32_e32 v22, v20
	v_fmac_f32_e32 v52, -0.5, v1
	v_fmac_f32_e32 v51, -0.5, v0
	v_fmac_f32_e32 v23, 0x3f737871, v53
	v_fmac_f32_e32 v22, 0xbf737871, v64
	v_mov_b32_e32 v1, v52
	v_mov_b32_e32 v0, v51
	v_fmac_f32_e32 v23, 0x3f167918, v27
	v_fmac_f32_e32 v22, 0xbf167918, v69
	;; [unrolled: 1-line block ×10, first 2 shown]
	v_add_f32_e32 v24, v2, v24
	v_fmac_f32_e32 v1, 0xbf167918, v53
	v_fmac_f32_e32 v52, 0x3f167918, v53
	;; [unrolled: 1-line block ×6, first 2 shown]
	v_add_lshl_u32 v2, v62, v63, 3
	v_fmac_f32_e32 v1, 0x3e9e377a, v19
	v_fmac_f32_e32 v52, 0x3e9e377a, v19
	;; [unrolled: 1-line block ×6, first 2 shown]
	ds_write2_b64 v2, v[24:25], v[22:23] offset1:1
	ds_write2_b64 v2, v[51:52], v[0:1] offset0:2 offset1:3
	ds_write_b64 v2, v[20:21] offset:32
.LBB0_13:
	s_or_b64 exec, exec, s[0:1]
	s_waitcnt lgkmcnt(0)
	; wave barrier
	s_waitcnt lgkmcnt(0)
	ds_read2_b64 v[0:3], v55 offset0:30 offset1:40
	ds_read2_b64 v[16:19], v55 offset0:10 offset1:20
	;; [unrolled: 1-line block ×3, first 2 shown]
	ds_read_b64 v[26:27], v61
	ds_read_b64 v[51:52], v55 offset:560
	s_waitcnt lgkmcnt(4)
	v_mul_f32_e32 v53, v48, v3
	v_fmac_f32_e32 v53, v47, v2
	v_mul_f32_e32 v2, v48, v2
	v_fma_f32 v3, v47, v3, -v2
	s_waitcnt lgkmcnt(2)
	v_mul_f32_e32 v47, v46, v21
	v_mul_f32_e32 v2, v46, v20
	v_fmac_f32_e32 v47, v45, v20
	v_fma_f32 v45, v45, v21, -v2
	v_mul_f32_e32 v46, v44, v23
	v_mul_f32_e32 v2, v44, v22
	v_fmac_f32_e32 v46, v43, v22
	v_fma_f32 v43, v43, v23, -v2
	s_waitcnt lgkmcnt(0)
	v_mul_f32_e32 v44, v42, v52
	v_mul_f32_e32 v2, v42, v51
	v_fmac_f32_e32 v44, v41, v51
	v_fma_f32 v42, v41, v52, -v2
	v_sub_f32_e32 v2, v26, v53
	v_sub_f32_e32 v3, v27, v3
	v_fma_f32 v20, v26, 2.0, -v2
	v_fma_f32 v21, v27, 2.0, -v3
	v_sub_f32_e32 v22, v16, v47
	v_sub_f32_e32 v23, v17, v45
	;; [unrolled: 1-line block ×6, first 2 shown]
	v_fma_f32 v16, v16, 2.0, -v22
	v_fma_f32 v17, v17, 2.0, -v23
	;; [unrolled: 1-line block ×6, first 2 shown]
	s_waitcnt lgkmcnt(0)
	; wave barrier
	ds_write2_b64 v65, v[20:21], v[2:3] offset1:5
	ds_write2_b64 v67, v[16:17], v[22:23] offset1:5
	;; [unrolled: 1-line block ×4, first 2 shown]
	s_waitcnt lgkmcnt(0)
	; wave barrier
	s_waitcnt lgkmcnt(0)
	ds_read2_b64 v[0:3], v55 offset0:10 offset1:20
	ds_read2_b64 v[16:19], v55 offset0:30 offset1:40
	;; [unrolled: 1-line block ×3, first 2 shown]
	ds_read_b64 v[26:27], v61
	ds_read_b64 v[41:42], v55 offset:560
	s_waitcnt lgkmcnt(4)
	v_mul_f32_e32 v43, v13, v1
	v_fmac_f32_e32 v43, v12, v0
	v_mul_f32_e32 v0, v13, v0
	v_fma_f32 v0, v12, v1, -v0
	v_mul_f32_e32 v1, v15, v3
	v_fmac_f32_e32 v1, v14, v2
	v_mul_f32_e32 v2, v15, v2
	v_fma_f32 v2, v14, v3, -v2
	s_waitcnt lgkmcnt(3)
	v_mul_f32_e32 v3, v9, v17
	v_mul_f32_e32 v9, v9, v16
	v_fmac_f32_e32 v3, v8, v16
	v_fma_f32 v8, v8, v17, -v9
	v_mul_f32_e32 v9, v11, v19
	v_mul_f32_e32 v11, v11, v18
	v_fmac_f32_e32 v9, v10, v18
	v_fma_f32 v10, v10, v19, -v11
	s_waitcnt lgkmcnt(2)
	v_mul_f32_e32 v11, v5, v21
	v_mul_f32_e32 v5, v5, v20
	v_fmac_f32_e32 v11, v4, v20
	v_fma_f32 v4, v4, v21, -v5
	v_mul_f32_e32 v5, v7, v23
	v_mul_f32_e32 v7, v7, v22
	v_fmac_f32_e32 v5, v6, v22
	v_fma_f32 v6, v6, v23, -v7
	s_waitcnt lgkmcnt(0)
	v_mul_f32_e32 v7, v50, v42
	v_mul_f32_e32 v12, v50, v41
	v_sub_f32_e32 v9, v26, v9
	v_sub_f32_e32 v10, v27, v10
	;; [unrolled: 1-line block ×4, first 2 shown]
	v_fmac_f32_e32 v7, v49, v41
	v_fma_f32 v12, v49, v42, -v12
	v_fma_f32 v13, v26, 2.0, -v9
	v_fma_f32 v14, v27, 2.0, -v10
	;; [unrolled: 1-line block ×4, first 2 shown]
	v_sub_f32_e32 v11, v43, v11
	v_sub_f32_e32 v4, v0, v4
	;; [unrolled: 1-line block ×6, first 2 shown]
	v_fma_f32 v15, v43, 2.0, -v11
	v_fma_f32 v0, v0, 2.0, -v4
	;; [unrolled: 1-line block ×6, first 2 shown]
	v_add_f32_e32 v14, v9, v6
	v_sub_f32_e32 v18, v10, v5
	v_fma_f32 v6, v9, 2.0, -v14
	v_fma_f32 v9, v10, 2.0, -v18
	v_sub_f32_e32 v10, v15, v3
	v_sub_f32_e32 v8, v0, v8
	v_fma_f32 v1, v15, 2.0, -v10
	v_fma_f32 v3, v0, 2.0, -v8
	v_add_f32_e32 v15, v11, v12
	v_sub_f32_e32 v19, v4, v7
	v_fma_f32 v7, v11, 2.0, -v15
	v_fma_f32 v11, v4, 2.0, -v19
	v_sub_f32_e32 v0, v2, v1
	v_sub_f32_e32 v1, v13, v3
	v_mov_b32_e32 v5, v9
	v_fma_f32 v3, v13, 2.0, -v1
	v_mov_b32_e32 v4, v6
	v_fmac_f32_e32 v5, 0xbf3504f3, v11
	v_mov_b32_e32 v12, v14
	v_mov_b32_e32 v13, v18
	v_fmac_f32_e32 v4, 0xbf3504f3, v7
	v_fmac_f32_e32 v5, 0xbf3504f3, v7
	;; [unrolled: 1-line block ×4, first 2 shown]
	v_mad_u64_u32 v[24:25], s[0:1], s10, v30, 0
	v_fma_f32 v2, v2, 2.0, -v0
	v_fmac_f32_e32 v4, 0x3f3504f3, v11
	v_fma_f32 v7, v9, 2.0, -v5
	v_add_f32_e32 v8, v16, v8
	v_sub_f32_e32 v9, v17, v10
	v_fmac_f32_e32 v12, 0x3f3504f3, v19
	v_fmac_f32_e32 v13, 0xbf3504f3, v15
	v_fma_f32 v6, v6, 2.0, -v4
	v_fma_f32 v10, v16, 2.0, -v8
	;; [unrolled: 1-line block ×5, first 2 shown]
	ds_write_b64 v61, v[2:3]
	ds_write2_b64 v55, v[6:7], v[10:11] offset0:10 offset1:20
	ds_write2_b64 v55, v[14:15], v[0:1] offset0:30 offset1:40
	ds_write2_b64 v55, v[4:5], v[8:9] offset0:50 offset1:60
	ds_write_b64 v55, v[12:13] offset:560
	s_waitcnt lgkmcnt(0)
	; wave barrier
	s_waitcnt lgkmcnt(0)
	ds_read_b64 v[0:1], v61
	v_mov_b32_e32 v2, v25
	v_mad_u64_u32 v[2:3], s[0:1], s11, v30, v[2:3]
	s_mov_b32 s4, 0x9999999a
	s_waitcnt lgkmcnt(0)
	v_mul_f32_e32 v3, v40, v1
	v_fmac_f32_e32 v3, v39, v0
	v_cvt_f64_f32_e32 v[3:4], v3
	s_mov_b32 s5, 0x3f899999
	v_mul_f32_e32 v0, v40, v0
	v_fma_f32 v0, v39, v1, -v0
	v_mul_f64 v[3:4], v[3:4], s[4:5]
	v_cvt_f64_f32_e32 v[0:1], v0
	v_mad_u64_u32 v[5:6], s[0:1], s8, v59, 0
	v_mov_b32_e32 v25, v2
	v_mul_f64 v[7:8], v[0:1], s[4:5]
	v_mov_b32_e32 v0, v6
	v_mad_u64_u32 v[9:10], s[0:1], s9, v59, v[0:1]
	v_cvt_f32_f64_e32 v10, v[3:4]
	ds_read2_b64 v[0:3], v55 offset0:16 offset1:32
	v_mov_b32_e32 v6, v9
	v_mov_b32_e32 v4, s3
	v_cvt_f32_f64_e32 v11, v[7:8]
	v_lshlrev_b64 v[7:8], 3, v[24:25]
	s_waitcnt lgkmcnt(0)
	v_mul_f32_e32 v9, v38, v1
	v_fmac_f32_e32 v9, v37, v0
	v_cvt_f64_f32_e32 v[12:13], v9
	v_mul_f32_e32 v0, v38, v0
	v_fma_f32 v0, v37, v1, -v0
	v_add_co_u32_e64 v14, s[0:1], s2, v7
	v_cvt_f64_f32_e32 v[0:1], v0
	v_addc_co_u32_e64 v15, s[0:1], v4, v8, s[0:1]
	v_lshlrev_b64 v[4:5], 3, v[5:6]
	v_mul_f64 v[6:7], v[12:13], s[4:5]
	v_mul_f64 v[8:9], v[0:1], s[4:5]
	v_add_co_u32_e64 v0, s[0:1], v14, v4
	v_addc_co_u32_e64 v1, s[0:1], v15, v5, s[0:1]
	v_mad_u64_u32 v[4:5], s[0:1], s8, v60, 0
	v_cvt_f32_f64_e32 v6, v[6:7]
	v_cvt_f32_f64_e32 v7, v[8:9]
	global_store_dwordx2 v[0:1], v[10:11], off
	v_mad_u64_u32 v[8:9], s[0:1], s9, v60, v[5:6]
	v_mul_f32_e32 v5, v36, v3
	v_fmac_f32_e32 v5, v35, v2
	v_cvt_f64_f32_e32 v[9:10], v5
	v_mul_f32_e32 v2, v36, v2
	v_fma_f32 v2, v35, v3, -v2
	v_cvt_f64_f32_e32 v[2:3], v2
	v_mov_b32_e32 v5, v8
	v_mul_f64 v[8:9], v[9:10], s[4:5]
	v_lshlrev_b64 v[4:5], 3, v[4:5]
	v_mul_f64 v[10:11], v[2:3], s[4:5]
	v_add_co_u32_e64 v2, s[0:1], v14, v4
	v_addc_co_u32_e64 v3, s[0:1], v15, v5, s[0:1]
	global_store_dwordx2 v[2:3], v[6:7], off
	ds_read2_b64 v[2:5], v55 offset0:48 offset1:64
	v_mad_u64_u32 v[6:7], s[0:1], s8, v58, 0
	v_cvt_f32_f64_e32 v8, v[8:9]
	v_cvt_f32_f64_e32 v9, v[10:11]
	v_mad_u64_u32 v[10:11], s[0:1], s9, v58, v[7:8]
	s_waitcnt lgkmcnt(0)
	v_mul_f32_e32 v7, v34, v3
	v_fmac_f32_e32 v7, v33, v2
	v_mul_f32_e32 v2, v34, v2
	v_fma_f32 v2, v33, v3, -v2
	v_cvt_f64_f32_e32 v[2:3], v2
	v_cvt_f64_f32_e32 v[11:12], v7
	v_mov_b32_e32 v7, v10
	v_lshlrev_b64 v[6:7], 3, v[6:7]
	v_mul_f64 v[2:3], v[2:3], s[4:5]
	v_add_co_u32_e64 v6, s[0:1], v14, v6
	v_mul_f64 v[10:11], v[11:12], s[4:5]
	v_addc_co_u32_e64 v7, s[0:1], v15, v7, s[0:1]
	v_mad_u64_u32 v[12:13], s[0:1], s8, v57, 0
	global_store_dwordx2 v[6:7], v[8:9], off
	v_cvt_f32_f64_e32 v7, v[2:3]
	v_mov_b32_e32 v2, v13
	v_mad_u64_u32 v[2:3], s[0:1], s9, v57, v[2:3]
	v_mul_f32_e32 v3, v32, v5
	v_fmac_f32_e32 v3, v31, v4
	v_cvt_f64_f32_e32 v[8:9], v3
	v_mul_f32_e32 v3, v32, v4
	v_fma_f32 v3, v31, v5, -v3
	v_cvt_f64_f32_e32 v[3:4], v3
	v_cvt_f32_f64_e32 v6, v[10:11]
	v_mov_b32_e32 v13, v2
	v_lshlrev_b64 v[10:11], 3, v[12:13]
	v_mul_f64 v[2:3], v[3:4], s[4:5]
	v_mad_u64_u32 v[4:5], s[0:1], s8, v56, 0
	v_mul_f64 v[8:9], v[8:9], s[4:5]
	v_add_co_u32_e64 v10, s[0:1], v14, v10
	v_addc_co_u32_e64 v11, s[0:1], v15, v11, s[0:1]
	v_mad_u64_u32 v[12:13], s[0:1], s9, v56, v[5:6]
	global_store_dwordx2 v[10:11], v[6:7], off
	v_cvt_f32_f64_e32 v6, v[8:9]
	v_mov_b32_e32 v5, v12
	v_cvt_f32_f64_e32 v7, v[2:3]
	v_lshlrev_b64 v[2:3], 3, v[4:5]
	v_add_co_u32_e64 v2, s[0:1], v14, v2
	v_addc_co_u32_e64 v3, s[0:1], v15, v3, s[0:1]
	global_store_dwordx2 v[2:3], v[6:7], off
	s_and_b64 exec, exec, vcc
	s_cbranch_execz .LBB0_15
; %bb.14:
	global_load_dwordx2 v[10:11], v[28:29], off offset:80
	global_load_dwordx2 v[12:13], v[28:29], off offset:208
	;; [unrolled: 1-line block ×5, first 2 shown]
	ds_read2_b64 v[2:5], v55 offset0:10 offset1:26
	v_mov_b32_e32 v6, 0x50
	v_mad_u64_u32 v[0:1], s[2:3], s8, v6, v[0:1]
	ds_read2_b64 v[6:9], v55 offset0:42 offset1:58
	ds_read_b64 v[20:21], v55 offset:592
	s_mul_i32 s6, s9, 0x50
	s_lshl_b64 s[0:1], s[8:9], 7
	v_mov_b32_e32 v29, s1
	v_add_u32_e32 v1, s6, v1
	v_add_co_u32_e32 v22, vcc, s0, v0
	v_addc_co_u32_e32 v23, vcc, v1, v29, vcc
	v_add_co_u32_e32 v24, vcc, s0, v22
	v_addc_co_u32_e32 v25, vcc, v23, v29, vcc
	;; [unrolled: 2-line block ×4, first 2 shown]
	s_waitcnt vmcnt(4) lgkmcnt(2)
	v_mul_f32_e32 v30, v3, v11
	v_mul_f32_e32 v11, v2, v11
	s_waitcnt vmcnt(3)
	v_mul_f32_e32 v31, v5, v13
	v_mul_f32_e32 v13, v4, v13
	v_fmac_f32_e32 v30, v2, v10
	v_fma_f32 v10, v10, v3, -v11
	s_waitcnt vmcnt(2) lgkmcnt(1)
	v_mul_f32_e32 v32, v7, v15
	v_mul_f32_e32 v15, v6, v15
	s_waitcnt vmcnt(1)
	v_mul_f32_e32 v33, v9, v17
	v_mul_f32_e32 v17, v8, v17
	v_fmac_f32_e32 v31, v4, v12
	v_fma_f32 v11, v12, v5, -v13
	v_cvt_f64_f32_e32 v[2:3], v30
	v_cvt_f64_f32_e32 v[4:5], v10
	v_fmac_f32_e32 v32, v6, v14
	v_fma_f32 v12, v14, v7, -v15
	v_fmac_f32_e32 v33, v8, v16
	v_fma_f32 v16, v16, v9, -v17
	v_cvt_f64_f32_e32 v[6:7], v31
	v_cvt_f64_f32_e32 v[8:9], v11
	s_waitcnt vmcnt(0) lgkmcnt(0)
	v_mul_f32_e32 v34, v21, v19
	v_mul_f32_e32 v19, v20, v19
	v_cvt_f64_f32_e32 v[10:11], v32
	v_cvt_f64_f32_e32 v[12:13], v12
	v_fmac_f32_e32 v34, v20, v18
	v_fma_f32 v20, v18, v21, -v19
	v_cvt_f64_f32_e32 v[14:15], v33
	v_cvt_f64_f32_e32 v[16:17], v16
	;; [unrolled: 1-line block ×4, first 2 shown]
	v_mul_f64 v[2:3], v[2:3], s[4:5]
	v_mul_f64 v[4:5], v[4:5], s[4:5]
	;; [unrolled: 1-line block ×10, first 2 shown]
	v_cvt_f32_f64_e32 v2, v[2:3]
	v_cvt_f32_f64_e32 v3, v[4:5]
	v_cvt_f32_f64_e32 v4, v[6:7]
	v_cvt_f32_f64_e32 v5, v[8:9]
	v_cvt_f32_f64_e32 v6, v[10:11]
	v_cvt_f32_f64_e32 v7, v[12:13]
	v_cvt_f32_f64_e32 v8, v[14:15]
	v_cvt_f32_f64_e32 v9, v[16:17]
	v_cvt_f32_f64_e32 v10, v[18:19]
	v_cvt_f32_f64_e32 v11, v[20:21]
	global_store_dwordx2 v[0:1], v[2:3], off
	global_store_dwordx2 v[22:23], v[4:5], off
	global_store_dwordx2 v[24:25], v[6:7], off
	global_store_dwordx2 v[26:27], v[8:9], off
	global_store_dwordx2 v[28:29], v[10:11], off
.LBB0_15:
	s_endpgm
	.section	.rodata,"a",@progbits
	.p2align	6, 0x0
	.amdhsa_kernel bluestein_single_fwd_len80_dim1_sp_op_CI_CI
		.amdhsa_group_segment_fixed_size 3840
		.amdhsa_private_segment_fixed_size 0
		.amdhsa_kernarg_size 104
		.amdhsa_user_sgpr_count 6
		.amdhsa_user_sgpr_private_segment_buffer 1
		.amdhsa_user_sgpr_dispatch_ptr 0
		.amdhsa_user_sgpr_queue_ptr 0
		.amdhsa_user_sgpr_kernarg_segment_ptr 1
		.amdhsa_user_sgpr_dispatch_id 0
		.amdhsa_user_sgpr_flat_scratch_init 0
		.amdhsa_user_sgpr_private_segment_size 0
		.amdhsa_uses_dynamic_stack 0
		.amdhsa_system_sgpr_private_segment_wavefront_offset 0
		.amdhsa_system_sgpr_workgroup_id_x 1
		.amdhsa_system_sgpr_workgroup_id_y 0
		.amdhsa_system_sgpr_workgroup_id_z 0
		.amdhsa_system_sgpr_workgroup_info 0
		.amdhsa_system_vgpr_workitem_id 0
		.amdhsa_next_free_vgpr 83
		.amdhsa_next_free_sgpr 16
		.amdhsa_reserve_vcc 1
		.amdhsa_reserve_flat_scratch 0
		.amdhsa_float_round_mode_32 0
		.amdhsa_float_round_mode_16_64 0
		.amdhsa_float_denorm_mode_32 3
		.amdhsa_float_denorm_mode_16_64 3
		.amdhsa_dx10_clamp 1
		.amdhsa_ieee_mode 1
		.amdhsa_fp16_overflow 0
		.amdhsa_exception_fp_ieee_invalid_op 0
		.amdhsa_exception_fp_denorm_src 0
		.amdhsa_exception_fp_ieee_div_zero 0
		.amdhsa_exception_fp_ieee_overflow 0
		.amdhsa_exception_fp_ieee_underflow 0
		.amdhsa_exception_fp_ieee_inexact 0
		.amdhsa_exception_int_div_zero 0
	.end_amdhsa_kernel
	.text
.Lfunc_end0:
	.size	bluestein_single_fwd_len80_dim1_sp_op_CI_CI, .Lfunc_end0-bluestein_single_fwd_len80_dim1_sp_op_CI_CI
                                        ; -- End function
	.section	.AMDGPU.csdata,"",@progbits
; Kernel info:
; codeLenInByte = 6404
; NumSgprs: 20
; NumVgprs: 83
; ScratchSize: 0
; MemoryBound: 0
; FloatMode: 240
; IeeeMode: 1
; LDSByteSize: 3840 bytes/workgroup (compile time only)
; SGPRBlocks: 2
; VGPRBlocks: 20
; NumSGPRsForWavesPerEU: 20
; NumVGPRsForWavesPerEU: 83
; Occupancy: 3
; WaveLimiterHint : 1
; COMPUTE_PGM_RSRC2:SCRATCH_EN: 0
; COMPUTE_PGM_RSRC2:USER_SGPR: 6
; COMPUTE_PGM_RSRC2:TRAP_HANDLER: 0
; COMPUTE_PGM_RSRC2:TGID_X_EN: 1
; COMPUTE_PGM_RSRC2:TGID_Y_EN: 0
; COMPUTE_PGM_RSRC2:TGID_Z_EN: 0
; COMPUTE_PGM_RSRC2:TIDIG_COMP_CNT: 0
	.type	__hip_cuid_29f0116925117df6,@object ; @__hip_cuid_29f0116925117df6
	.section	.bss,"aw",@nobits
	.globl	__hip_cuid_29f0116925117df6
__hip_cuid_29f0116925117df6:
	.byte	0                               ; 0x0
	.size	__hip_cuid_29f0116925117df6, 1

	.ident	"AMD clang version 19.0.0git (https://github.com/RadeonOpenCompute/llvm-project roc-6.4.0 25133 c7fe45cf4b819c5991fe208aaa96edf142730f1d)"
	.section	".note.GNU-stack","",@progbits
	.addrsig
	.addrsig_sym __hip_cuid_29f0116925117df6
	.amdgpu_metadata
---
amdhsa.kernels:
  - .args:
      - .actual_access:  read_only
        .address_space:  global
        .offset:         0
        .size:           8
        .value_kind:     global_buffer
      - .actual_access:  read_only
        .address_space:  global
        .offset:         8
        .size:           8
        .value_kind:     global_buffer
      - .actual_access:  read_only
        .address_space:  global
        .offset:         16
        .size:           8
        .value_kind:     global_buffer
      - .actual_access:  read_only
        .address_space:  global
        .offset:         24
        .size:           8
        .value_kind:     global_buffer
      - .actual_access:  read_only
        .address_space:  global
        .offset:         32
        .size:           8
        .value_kind:     global_buffer
      - .offset:         40
        .size:           8
        .value_kind:     by_value
      - .address_space:  global
        .offset:         48
        .size:           8
        .value_kind:     global_buffer
      - .address_space:  global
        .offset:         56
        .size:           8
        .value_kind:     global_buffer
      - .address_space:  global
        .offset:         64
        .size:           8
        .value_kind:     global_buffer
      - .address_space:  global
        .offset:         72
        .size:           8
        .value_kind:     global_buffer
      - .offset:         80
        .size:           4
        .value_kind:     by_value
      - .address_space:  global
        .offset:         88
        .size:           8
        .value_kind:     global_buffer
      - .address_space:  global
        .offset:         96
        .size:           8
        .value_kind:     global_buffer
    .group_segment_fixed_size: 3840
    .kernarg_segment_align: 8
    .kernarg_segment_size: 104
    .language:       OpenCL C
    .language_version:
      - 2
      - 0
    .max_flat_workgroup_size: 60
    .name:           bluestein_single_fwd_len80_dim1_sp_op_CI_CI
    .private_segment_fixed_size: 0
    .sgpr_count:     20
    .sgpr_spill_count: 0
    .symbol:         bluestein_single_fwd_len80_dim1_sp_op_CI_CI.kd
    .uniform_work_group_size: 1
    .uses_dynamic_stack: false
    .vgpr_count:     83
    .vgpr_spill_count: 0
    .wavefront_size: 64
amdhsa.target:   amdgcn-amd-amdhsa--gfx906
amdhsa.version:
  - 1
  - 2
...

	.end_amdgpu_metadata
